;; amdgpu-corpus repo=llvm/llvm-project kind=harvested arch=n/a opt=n/a
// NOTE: Assertions have been autogenerated by utils/update_mc_test_checks.py UTC_ARGS: --unique --sort --version 6
// RUN: not llvm-mc -triple amdgcn-- -mcpu gfx900 %s -o - -filetype=null 2>&1 | FileCheck %s

        .amdgpu_lds huge, 200000
// CHECK: :[[@LINE-1]]:27: error: size is too large

        .amdgpu_lds huge_align, 0, 1099511627776
// CHECK: :[[@LINE-1]]:36: error: alignment is too large

        .amdgpu_lds negsize, -4
// CHECK: :[[@LINE-1]]:30: error: size must be non-negative

        .amdgpu_lds non_pot_align, 0, 12
// CHECK: :[[@LINE-1]]:39: error: alignment must be a power of two

        .amdgpu_lds zero_align, 5, 0
// CHECK: :[[@LINE-1]]:36: error: alignment must be a power of two

        .amdgpu_ldsnowhitespace, 8
// CHECK: :[[@LINE-1]]:9: error: unknown directive
